;; amdgpu-corpus repo=ROCm/rocFFT kind=compiled arch=gfx906 opt=O3
	.text
	.amdgcn_target "amdgcn-amd-amdhsa--gfx906"
	.amdhsa_code_object_version 6
	.protected	fft_rtc_fwd_len576_factors_16_6_6_wgs_96_tpt_96_halfLds_half_op_CI_CI_unitstride_sbrr_dirReg ; -- Begin function fft_rtc_fwd_len576_factors_16_6_6_wgs_96_tpt_96_halfLds_half_op_CI_CI_unitstride_sbrr_dirReg
	.globl	fft_rtc_fwd_len576_factors_16_6_6_wgs_96_tpt_96_halfLds_half_op_CI_CI_unitstride_sbrr_dirReg
	.p2align	8
	.type	fft_rtc_fwd_len576_factors_16_6_6_wgs_96_tpt_96_halfLds_half_op_CI_CI_unitstride_sbrr_dirReg,@function
fft_rtc_fwd_len576_factors_16_6_6_wgs_96_tpt_96_halfLds_half_op_CI_CI_unitstride_sbrr_dirReg: ; @fft_rtc_fwd_len576_factors_16_6_6_wgs_96_tpt_96_halfLds_half_op_CI_CI_unitstride_sbrr_dirReg
; %bb.0:
	s_load_dwordx4 s[8:11], s[4:5], 0x58
	s_load_dwordx4 s[12:15], s[4:5], 0x0
	;; [unrolled: 1-line block ×3, first 2 shown]
	v_mul_u32_u24_e32 v1, 0x2ab, v0
	v_mov_b32_e32 v5, 0
	v_mov_b32_e32 v7, 0
	s_waitcnt lgkmcnt(0)
	v_cmp_lt_u64_e64 s[0:1], s[14:15], 2
	v_add_u32_sdwa v9, s6, v1 dst_sel:DWORD dst_unused:UNUSED_PAD src0_sel:DWORD src1_sel:WORD_1
	v_mov_b32_e32 v10, v5
	s_and_b64 vcc, exec, s[0:1]
	v_mov_b32_e32 v8, 0
	s_cbranch_vccnz .LBB0_8
; %bb.1:
	s_load_dwordx2 s[0:1], s[4:5], 0x10
	s_add_u32 s2, s18, 8
	s_addc_u32 s3, s19, 0
	s_add_u32 s6, s16, 8
	s_addc_u32 s7, s17, 0
	v_mov_b32_e32 v7, 0
	s_waitcnt lgkmcnt(0)
	s_add_u32 s20, s0, 8
	v_mov_b32_e32 v8, 0
	v_mov_b32_e32 v1, v7
	s_addc_u32 s21, s1, 0
	s_mov_b64 s[22:23], 1
	v_mov_b32_e32 v2, v8
.LBB0_2:                                ; =>This Inner Loop Header: Depth=1
	s_load_dwordx2 s[24:25], s[20:21], 0x0
                                        ; implicit-def: $vgpr3_vgpr4
	s_waitcnt lgkmcnt(0)
	v_or_b32_e32 v6, s25, v10
	v_cmp_ne_u64_e32 vcc, 0, v[5:6]
	s_and_saveexec_b64 s[0:1], vcc
	s_xor_b64 s[26:27], exec, s[0:1]
	s_cbranch_execz .LBB0_4
; %bb.3:                                ;   in Loop: Header=BB0_2 Depth=1
	v_cvt_f32_u32_e32 v3, s24
	v_cvt_f32_u32_e32 v4, s25
	s_sub_u32 s0, 0, s24
	s_subb_u32 s1, 0, s25
	v_mac_f32_e32 v3, 0x4f800000, v4
	v_rcp_f32_e32 v3, v3
	v_mul_f32_e32 v3, 0x5f7ffffc, v3
	v_mul_f32_e32 v4, 0x2f800000, v3
	v_trunc_f32_e32 v4, v4
	v_mac_f32_e32 v3, 0xcf800000, v4
	v_cvt_u32_f32_e32 v4, v4
	v_cvt_u32_f32_e32 v3, v3
	v_mul_lo_u32 v6, s0, v4
	v_mul_hi_u32 v11, s0, v3
	v_mul_lo_u32 v13, s1, v3
	v_mul_lo_u32 v12, s0, v3
	v_add_u32_e32 v6, v11, v6
	v_add_u32_e32 v6, v6, v13
	v_mul_hi_u32 v11, v3, v12
	v_mul_lo_u32 v13, v3, v6
	v_mul_hi_u32 v15, v3, v6
	v_mul_hi_u32 v14, v4, v12
	v_mul_lo_u32 v12, v4, v12
	v_mul_hi_u32 v16, v4, v6
	v_add_co_u32_e32 v11, vcc, v11, v13
	v_addc_co_u32_e32 v13, vcc, 0, v15, vcc
	v_mul_lo_u32 v6, v4, v6
	v_add_co_u32_e32 v11, vcc, v11, v12
	v_addc_co_u32_e32 v11, vcc, v13, v14, vcc
	v_addc_co_u32_e32 v12, vcc, 0, v16, vcc
	v_add_co_u32_e32 v6, vcc, v11, v6
	v_addc_co_u32_e32 v11, vcc, 0, v12, vcc
	v_add_co_u32_e32 v3, vcc, v3, v6
	v_addc_co_u32_e32 v4, vcc, v4, v11, vcc
	v_mul_lo_u32 v6, s0, v4
	v_mul_hi_u32 v11, s0, v3
	v_mul_lo_u32 v12, s1, v3
	v_mul_lo_u32 v13, s0, v3
	v_add_u32_e32 v6, v11, v6
	v_add_u32_e32 v6, v6, v12
	v_mul_lo_u32 v14, v3, v6
	v_mul_hi_u32 v15, v3, v13
	v_mul_hi_u32 v16, v3, v6
	v_mul_hi_u32 v12, v4, v13
	v_mul_lo_u32 v13, v4, v13
	v_mul_hi_u32 v11, v4, v6
	v_add_co_u32_e32 v14, vcc, v15, v14
	v_addc_co_u32_e32 v15, vcc, 0, v16, vcc
	v_mul_lo_u32 v6, v4, v6
	v_add_co_u32_e32 v13, vcc, v14, v13
	v_addc_co_u32_e32 v12, vcc, v15, v12, vcc
	v_addc_co_u32_e32 v11, vcc, 0, v11, vcc
	v_add_co_u32_e32 v6, vcc, v12, v6
	v_addc_co_u32_e32 v11, vcc, 0, v11, vcc
	v_add_co_u32_e32 v6, vcc, v3, v6
	v_addc_co_u32_e32 v11, vcc, v4, v11, vcc
	v_mad_u64_u32 v[3:4], s[0:1], v9, v11, 0
	v_mul_hi_u32 v12, v9, v6
	v_add_co_u32_e32 v13, vcc, v12, v3
	v_addc_co_u32_e32 v14, vcc, 0, v4, vcc
	v_mad_u64_u32 v[3:4], s[0:1], v10, v6, 0
	v_mad_u64_u32 v[11:12], s[0:1], v10, v11, 0
	v_add_co_u32_e32 v3, vcc, v13, v3
	v_addc_co_u32_e32 v3, vcc, v14, v4, vcc
	v_addc_co_u32_e32 v4, vcc, 0, v12, vcc
	v_add_co_u32_e32 v6, vcc, v3, v11
	v_addc_co_u32_e32 v11, vcc, 0, v4, vcc
	v_mul_lo_u32 v12, s25, v6
	v_mul_lo_u32 v13, s24, v11
	v_mad_u64_u32 v[3:4], s[0:1], s24, v6, 0
	v_add3_u32 v4, v4, v13, v12
	v_sub_u32_e32 v12, v10, v4
	v_mov_b32_e32 v13, s25
	v_sub_co_u32_e32 v3, vcc, v9, v3
	v_subb_co_u32_e64 v12, s[0:1], v12, v13, vcc
	v_subrev_co_u32_e64 v13, s[0:1], s24, v3
	v_subbrev_co_u32_e64 v12, s[0:1], 0, v12, s[0:1]
	v_cmp_le_u32_e64 s[0:1], s25, v12
	v_cndmask_b32_e64 v14, 0, -1, s[0:1]
	v_cmp_le_u32_e64 s[0:1], s24, v13
	v_cndmask_b32_e64 v13, 0, -1, s[0:1]
	v_cmp_eq_u32_e64 s[0:1], s25, v12
	v_cndmask_b32_e64 v12, v14, v13, s[0:1]
	v_add_co_u32_e64 v13, s[0:1], 2, v6
	v_addc_co_u32_e64 v14, s[0:1], 0, v11, s[0:1]
	v_add_co_u32_e64 v15, s[0:1], 1, v6
	v_addc_co_u32_e64 v16, s[0:1], 0, v11, s[0:1]
	v_subb_co_u32_e32 v4, vcc, v10, v4, vcc
	v_cmp_ne_u32_e64 s[0:1], 0, v12
	v_cmp_le_u32_e32 vcc, s25, v4
	v_cndmask_b32_e64 v12, v16, v14, s[0:1]
	v_cndmask_b32_e64 v14, 0, -1, vcc
	v_cmp_le_u32_e32 vcc, s24, v3
	v_cndmask_b32_e64 v3, 0, -1, vcc
	v_cmp_eq_u32_e32 vcc, s25, v4
	v_cndmask_b32_e32 v3, v14, v3, vcc
	v_cmp_ne_u32_e32 vcc, 0, v3
	v_cndmask_b32_e64 v3, v15, v13, s[0:1]
	v_cndmask_b32_e32 v4, v11, v12, vcc
	v_cndmask_b32_e32 v3, v6, v3, vcc
.LBB0_4:                                ;   in Loop: Header=BB0_2 Depth=1
	s_andn2_saveexec_b64 s[0:1], s[26:27]
	s_cbranch_execz .LBB0_6
; %bb.5:                                ;   in Loop: Header=BB0_2 Depth=1
	v_cvt_f32_u32_e32 v3, s24
	s_sub_i32 s26, 0, s24
	v_rcp_iflag_f32_e32 v3, v3
	v_mul_f32_e32 v3, 0x4f7ffffe, v3
	v_cvt_u32_f32_e32 v3, v3
	v_mul_lo_u32 v4, s26, v3
	v_mul_hi_u32 v4, v3, v4
	v_add_u32_e32 v3, v3, v4
	v_mul_hi_u32 v3, v9, v3
	v_mul_lo_u32 v4, v3, s24
	v_add_u32_e32 v6, 1, v3
	v_sub_u32_e32 v4, v9, v4
	v_subrev_u32_e32 v11, s24, v4
	v_cmp_le_u32_e32 vcc, s24, v4
	v_cndmask_b32_e32 v4, v4, v11, vcc
	v_cndmask_b32_e32 v3, v3, v6, vcc
	v_add_u32_e32 v6, 1, v3
	v_cmp_le_u32_e32 vcc, s24, v4
	v_cndmask_b32_e32 v3, v3, v6, vcc
	v_mov_b32_e32 v4, v5
.LBB0_6:                                ;   in Loop: Header=BB0_2 Depth=1
	s_or_b64 exec, exec, s[0:1]
	v_mul_lo_u32 v6, v4, s24
	v_mul_lo_u32 v13, v3, s25
	v_mad_u64_u32 v[11:12], s[0:1], v3, s24, 0
	s_load_dwordx2 s[0:1], s[6:7], 0x0
	s_load_dwordx2 s[24:25], s[2:3], 0x0
	v_add3_u32 v6, v12, v13, v6
	v_sub_co_u32_e32 v9, vcc, v9, v11
	v_subb_co_u32_e32 v6, vcc, v10, v6, vcc
	s_waitcnt lgkmcnt(0)
	v_mul_lo_u32 v10, s0, v6
	v_mul_lo_u32 v11, s1, v9
	v_mad_u64_u32 v[7:8], s[0:1], s0, v9, v[7:8]
	s_add_u32 s22, s22, 1
	s_addc_u32 s23, s23, 0
	s_add_u32 s2, s2, 8
	v_mul_lo_u32 v6, s24, v6
	v_mul_lo_u32 v12, s25, v9
	v_mad_u64_u32 v[1:2], s[0:1], s24, v9, v[1:2]
	v_add3_u32 v8, v11, v8, v10
	s_addc_u32 s3, s3, 0
	v_mov_b32_e32 v9, s14
	s_add_u32 s6, s6, 8
	v_mov_b32_e32 v10, s15
	s_addc_u32 s7, s7, 0
	v_cmp_ge_u64_e32 vcc, s[22:23], v[9:10]
	s_add_u32 s20, s20, 8
	v_add3_u32 v2, v12, v2, v6
	s_addc_u32 s21, s21, 0
	s_cbranch_vccnz .LBB0_9
; %bb.7:                                ;   in Loop: Header=BB0_2 Depth=1
	v_mov_b32_e32 v10, v4
	v_mov_b32_e32 v9, v3
	s_branch .LBB0_2
.LBB0_8:
	v_mov_b32_e32 v1, v7
	v_mov_b32_e32 v3, v9
	;; [unrolled: 1-line block ×4, first 2 shown]
.LBB0_9:
	s_lshl_b64 s[14:15], s[14:15], 3
	s_load_dwordx2 s[0:1], s[4:5], 0x28
	s_add_u32 s2, s18, s14
	s_mov_b32 s3, 0x2aaaaab
	v_mul_hi_u32 v5, v0, s3
	s_addc_u32 s3, s19, s15
	s_load_dwordx2 s[2:3], s[2:3], 0x0
	s_waitcnt lgkmcnt(0)
	v_cmp_gt_u64_e32 vcc, s[0:1], v[3:4]
	v_mul_u32_u24_e32 v5, 0x60, v5
	v_sub_u32_e32 v5, v0, v5
	v_mov_b32_e32 v0, 0
	v_mov_b32_e32 v11, 0
	;; [unrolled: 1-line block ×17, first 2 shown]
                                        ; implicit-def: $vgpr10
                                        ; implicit-def: $vgpr13
                                        ; implicit-def: $vgpr35
                                        ; implicit-def: $vgpr20
                                        ; implicit-def: $vgpr37
                                        ; implicit-def: $vgpr22
                                        ; implicit-def: $vgpr31
                                        ; implicit-def: $vgpr21
                                        ; implicit-def: $vgpr39
                                        ; implicit-def: $vgpr27
                                        ; implicit-def: $vgpr36
                                        ; implicit-def: $vgpr23
                                        ; implicit-def: $vgpr38
                                        ; implicit-def: $vgpr30
                                        ; implicit-def: $vgpr32
                                        ; implicit-def: $vgpr24
	s_and_saveexec_b64 s[4:5], vcc
	s_cbranch_execz .LBB0_13
; %bb.10:
	v_cmp_gt_u32_e64 s[0:1], 36, v5
	v_mov_b32_e32 v14, 0
	v_mov_b32_e32 v26, 0
	;; [unrolled: 1-line block ×16, first 2 shown]
                                        ; implicit-def: $vgpr24
                                        ; implicit-def: $vgpr32
                                        ; implicit-def: $vgpr30
                                        ; implicit-def: $vgpr38
                                        ; implicit-def: $vgpr23
                                        ; implicit-def: $vgpr36
                                        ; implicit-def: $vgpr27
                                        ; implicit-def: $vgpr39
                                        ; implicit-def: $vgpr21
                                        ; implicit-def: $vgpr31
                                        ; implicit-def: $vgpr22
                                        ; implicit-def: $vgpr37
                                        ; implicit-def: $vgpr20
                                        ; implicit-def: $vgpr35
                                        ; implicit-def: $vgpr13
                                        ; implicit-def: $vgpr10
	s_and_saveexec_b64 s[6:7], s[0:1]
	s_cbranch_execz .LBB0_12
; %bb.11:
	s_add_u32 s0, s16, s14
	s_addc_u32 s1, s17, s15
	s_load_dwordx2 s[0:1], s[0:1], 0x0
	v_mov_b32_e32 v12, s9
	v_lshlrev_b64 v[7:8], 2, v[7:8]
	v_mov_b32_e32 v6, 0
	s_waitcnt lgkmcnt(0)
	v_mul_lo_u32 v0, s1, v3
	v_mul_lo_u32 v11, s0, v4
	v_mad_u64_u32 v[9:10], s[0:1], s0, v3, 0
	v_add3_u32 v10, v10, v11, v0
	v_lshlrev_b64 v[9:10], 2, v[9:10]
	v_add_co_u32_e64 v0, s[0:1], s8, v9
	v_addc_co_u32_e64 v9, s[0:1], v12, v10, s[0:1]
	v_add_co_u32_e64 v0, s[0:1], v0, v7
	v_lshlrev_b64 v[6:7], 2, v[5:6]
	v_addc_co_u32_e64 v8, s[0:1], v9, v8, s[0:1]
	v_add_co_u32_e64 v6, s[0:1], v0, v6
	v_addc_co_u32_e64 v7, s[0:1], v8, v7, s[0:1]
	global_load_dword v11, v[6:7], off
	global_load_dword v15, v[6:7], off offset:144
	global_load_dword v17, v[6:7], off offset:288
	;; [unrolled: 1-line block ×15, first 2 shown]
	s_waitcnt vmcnt(15)
	v_lshrrev_b32_e32 v0, 16, v11
	s_waitcnt vmcnt(14)
	v_lshrrev_b32_e32 v28, 16, v15
	;; [unrolled: 2-line block ×16, first 2 shown]
.LBB0_12:
	s_or_b64 exec, exec, s[6:7]
	v_mov_b32_e32 v6, v5
.LBB0_13:
	s_or_b64 exec, exec, s[4:5]
	v_sub_f16_e32 v8, v17, v22
	v_sub_f16_e32 v22, v33, v37
	;; [unrolled: 1-line block ×9, first 2 shown]
	v_fma_f16 v7, v17, 2.0, -v8
	v_fma_f16 v17, v33, 2.0, -v22
	v_sub_f16_e32 v33, v34, v38
	v_fma_f16 v19, v19, 2.0, -v30
	v_fma_f16 v15, v15, 2.0, -v37
	;; [unrolled: 1-line block ×7, first 2 shown]
	v_sub_f16_e32 v31, v25, v31
	v_sub_f16_e32 v32, v26, v32
	;; [unrolled: 1-line block ×7, first 2 shown]
	v_fma_f16 v34, v34, 2.0, -v33
	v_fma_f16 v25, v25, 2.0, -v31
	;; [unrolled: 1-line block ×3, first 2 shown]
	v_add_f16_e32 v30, v22, v30
	v_fma_f16 v33, v8, 2.0, -v19
	v_fma_f16 v8, v15, 2.0, -v40
	;; [unrolled: 1-line block ×3, first 2 shown]
	v_sub_f16_e32 v15, v37, v36
	v_fma_f16 v28, v38, 2.0, -v14
	v_sub_f16_e32 v38, v21, v32
	v_fma_f16 v22, v22, 2.0, -v30
	v_add_f16_e32 v36, v35, v23
	v_fma_f16 v23, v37, 2.0, -v15
	v_sub_f16_e32 v37, v25, v26
	v_add_f16_e32 v24, v31, v24
	v_fma_f16 v29, v21, 2.0, -v38
	s_mov_b32 s1, 0xb9a8
	v_sub_f16_e32 v20, v17, v34
	v_fma_f16 v34, v35, 2.0, -v36
	v_fma_f16 v25, v25, 2.0, -v37
	v_fma_f16 v21, v31, 2.0, -v24
	v_mul_f16_e32 v35, 0x39a8, v22
	v_fma_f16 v22, v29, s1, v23
	s_movk_i32 s0, 0x39a8
	v_mul_f16_e32 v26, 0x39a8, v19
	v_sub_f16_e32 v19, v8, v28
	v_sub_f16_e32 v28, v18, v25
	v_fma_f16 v25, v21, s1, v34
	v_fma_f16 v21, v21, s1, v22
	v_mul_f16_e32 v32, 0x39a8, v33
	v_fma_f16 v22, v29, s0, v25
	v_fma_f16 v29, v23, 2.0, -v21
	v_sub_f16_e32 v25, v40, v37
	v_add_f16_e32 v14, v41, v14
	v_fma_f16 v23, v38, s0, v15
	v_fma_f16 v33, v24, s0, v36
	v_mul_f16_e32 v31, 0x39a8, v30
	v_fma_f16 v30, v40, 2.0, -v25
	v_fma_f16 v40, v41, 2.0, -v14
	v_fma_f16 v23, v24, s1, v23
	v_fma_f16 v24, v38, s0, v33
	v_sub_f16_e32 v27, v12, v27
	v_sub_f16_e32 v39, v9, v39
	v_fma_f16 v34, v34, 2.0, -v22
	v_fma_f16 v33, v15, 2.0, -v23
	v_fma_f16 v36, v36, 2.0, -v24
	v_mul_f16_e32 v37, 0x39a8, v30
	v_mul_f16_e32 v38, 0x39a8, v40
	;; [unrolled: 1-line block ×4, first 2 shown]
	v_cmp_gt_u32_e64 s[0:1], 36, v5
	s_and_saveexec_b64 s[4:5], s[0:1]
	s_cbranch_execz .LBB0_15
; %bb.14:
	v_sub_f16_e32 v13, v11, v13
	v_sub_f16_e32 v14, v13, v39
	v_add_f16_e32 v15, v14, v26
	v_sub_f16_e32 v15, v15, v31
	v_fma_f16 v40, v14, 2.0, -v15
	v_fma_f16 v14, v13, 2.0, -v14
	;; [unrolled: 1-line block ×4, first 2 shown]
	v_sub_f16_e32 v42, v14, v32
	v_sub_f16_e32 v12, v11, v12
	;; [unrolled: 1-line block ×4, first 2 shown]
	v_fma_f16 v11, v11, 2.0, -v12
	v_fma_f16 v7, v7, 2.0, -v16
	s_mov_b32 s7, 0xbb64
	v_fma_f16 v45, v12, 2.0, -v13
	v_sub_f16_e32 v7, v11, v7
	v_fma_f16 v12, v14, 2.0, -v42
	s_mov_b32 s6, 0xb61f
	v_fma_f16 v14, v29, s7, v12
	v_fma_f16 v11, v11, 2.0, -v7
	v_fma_f16 v8, v8, 2.0, -v19
	v_fma_f16 v14, v34, s6, v14
	v_sub_f16_e32 v8, v11, v8
	v_fma_f16 v12, v12, 2.0, -v14
	v_fma_f16 v11, v11, 2.0, -v8
	v_fma_f16 v41, v33, s6, v40
	v_pack_b32_f16 v11, v11, v12
	v_sub_f16_e32 v12, v45, v37
	v_fma_f16 v41, v36, s7, v41
	v_sub_f16_e32 v12, v12, v38
	s_movk_i32 s8, 0x361f
	v_fma_f16 v40, v40, 2.0, -v41
	v_fma_f16 v45, v45, 2.0, -v12
	v_fma_f16 v43, v21, s8, v42
	s_movk_i32 s8, 0x3b64
	v_pack_b32_f16 v40, v45, v40
	v_lshl_add_u32 v45, v5, 5, 0
	v_fma_f16 v43, v22, s7, v43
	v_fma_f16 v44, v23, s8, v15
	ds_write2_b32 v45, v11, v40 offset1:1
	v_add_f16_e32 v11, v13, v25
	v_fma_f16 v44, v24, s6, v44
	v_sub_f16_e32 v11, v11, v30
	v_fma_f16 v40, v42, 2.0, -v43
	v_sub_f16_e32 v42, v7, v28
	v_fma_f16 v15, v15, 2.0, -v44
	v_fma_f16 v7, v7, 2.0, -v42
	;; [unrolled: 1-line block ×3, first 2 shown]
	v_pack_b32_f16 v7, v7, v40
	v_pack_b32_f16 v13, v13, v15
	ds_write2_b32 v45, v7, v13 offset0:2 offset1:3
	v_pack_b32_f16 v7, v8, v14
	v_pack_b32_f16 v8, v12, v41
	ds_write2_b32 v45, v7, v8 offset0:4 offset1:5
	;; [unrolled: 3-line block ×3, first 2 shown]
.LBB0_15:
	s_or_b64 exec, exec, s[4:5]
	v_lshl_add_u32 v7, v5, 1, 0
	s_waitcnt lgkmcnt(0)
	s_barrier
	ds_read_u16 v8, v7
	ds_read_u16 v15, v7 offset:192
	ds_read_u16 v14, v7 offset:384
	;; [unrolled: 1-line block ×5, first 2 shown]
	s_waitcnt lgkmcnt(0)
	s_barrier
	s_and_saveexec_b64 s[4:5], s[0:1]
	s_cbranch_execz .LBB0_17
; %bb.16:
	v_sub_f16_e32 v10, v0, v10
	v_add_f16_e32 v27, v10, v27
	v_fma_f16 v0, v0, 2.0, -v10
	v_fma_f16 v10, v10, 2.0, -v27
	;; [unrolled: 1-line block ×4, first 2 shown]
	v_sub_f16_e32 v20, v10, v35
	v_sub_f16_e32 v9, v0, v9
	v_add_f16_e32 v20, v32, v20
	v_add_f16_e32 v31, v27, v31
	v_fma_f16 v0, v0, 2.0, -v9
	v_fma_f16 v10, v10, 2.0, -v20
	v_add_f16_e32 v16, v9, v16
	v_add_f16_e32 v26, v26, v31
	s_mov_b32 s0, 0xbb64
	v_sub_f16_e32 v17, v0, v17
	v_fma_f16 v9, v9, 2.0, -v16
	v_fma_f16 v27, v27, 2.0, -v26
	;; [unrolled: 1-line block ×3, first 2 shown]
	v_fma_f16 v28, v34, s0, v10
	s_movk_i32 s0, 0x361f
	s_mov_b32 s1, 0xb61f
	v_fma_f16 v0, v0, 2.0, -v17
	v_fma_f16 v28, v29, s0, v28
	v_sub_f16_e32 v29, v9, v38
	v_fma_f16 v31, v36, s1, v27
	s_movk_i32 s1, 0x3b64
	v_fma_f16 v22, v22, s0, v20
	v_sub_f16_e32 v18, v0, v18
	v_add_f16_e32 v29, v37, v29
	v_fma_f16 v31, v33, s1, v31
	v_fma_f16 v21, v21, s1, v22
	v_add_f16_e32 v22, v16, v30
	v_fma_f16 v24, v24, s1, v26
	v_fma_f16 v0, v0, 2.0, -v18
	v_fma_f16 v10, v10, 2.0, -v28
	;; [unrolled: 1-line block ×4, first 2 shown]
	v_add_f16_e32 v19, v17, v19
	v_add_f16_e32 v22, v25, v22
	v_fma_f16 v23, v23, s0, v24
	v_fma_f16 v17, v17, 2.0, -v19
	v_fma_f16 v20, v20, 2.0, -v21
	;; [unrolled: 1-line block ×4, first 2 shown]
	v_mad_u32_u24 v25, v5, 30, v7
	v_pack_b32_f16 v0, v0, v10
	v_pack_b32_f16 v9, v9, v27
	ds_write2_b32 v25, v0, v9 offset1:1
	v_pack_b32_f16 v0, v17, v20
	v_pack_b32_f16 v9, v16, v24
	ds_write2_b32 v25, v0, v9 offset0:2 offset1:3
	v_pack_b32_f16 v0, v18, v28
	v_pack_b32_f16 v9, v29, v31
	ds_write2_b32 v25, v0, v9 offset0:4 offset1:5
	;; [unrolled: 3-line block ×3, first 2 shown]
.LBB0_17:
	s_or_b64 exec, exec, s[4:5]
	v_and_b32_e32 v0, 15, v5
	v_mul_u32_u24_e32 v9, 5, v0
	v_lshlrev_b32_e32 v9, 2, v9
	s_waitcnt lgkmcnt(0)
	s_barrier
	global_load_dwordx4 v[16:19], v9, s[12:13]
	global_load_dword v10, v9, s[12:13] offset:16
	ds_read_u16 v9, v7
	ds_read_u16 v20, v7 offset:192
	ds_read_u16 v21, v7 offset:384
	;; [unrolled: 1-line block ×5, first 2 shown]
	v_lshrrev_b32_e32 v25, 4, v5
	v_mul_u32_u24_e32 v25, 0x60, v25
	v_or_b32_e32 v0, v25, v0
	v_lshl_add_u32 v25, v0, 1, 0
	s_movk_i32 s0, 0x3aee
	s_mov_b32 s1, 0xbaee
	s_waitcnt vmcnt(0) lgkmcnt(0)
	s_barrier
	v_mul_f16_sdwa v0, v20, v16 dst_sel:DWORD dst_unused:UNUSED_PAD src0_sel:DWORD src1_sel:WORD_1
	v_mul_f16_sdwa v26, v15, v16 dst_sel:DWORD dst_unused:UNUSED_PAD src0_sel:DWORD src1_sel:WORD_1
	;; [unrolled: 1-line block ×10, first 2 shown]
	v_fma_f16 v0, v15, v16, -v0
	v_fma_f16 v15, v20, v16, v26
	v_fma_f16 v14, v14, v17, -v27
	v_fma_f16 v16, v21, v17, v28
	;; [unrolled: 2-line block ×3, first 2 shown]
	v_fma_f16 v18, v23, v19, v32
	v_fma_f16 v11, v11, v10, -v33
	v_fma_f16 v10, v24, v10, v34
	v_fma_f16 v12, v12, v19, -v31
	v_sub_f16_e32 v21, v16, v18
	v_add_f16_e32 v22, v9, v16
	v_add_f16_e32 v16, v16, v18
	;; [unrolled: 1-line block ×3, first 2 shown]
	v_sub_f16_e32 v26, v17, v10
	v_add_f16_e32 v27, v15, v17
	v_add_f16_e32 v17, v17, v10
	;; [unrolled: 1-line block ×4, first 2 shown]
	v_sub_f16_e32 v14, v14, v12
	v_add_f16_e32 v23, v0, v13
	v_sub_f16_e32 v13, v13, v11
	v_fma_f16 v9, v16, -0.5, v9
	v_fma_f16 v0, v24, -0.5, v0
	v_fma_f16 v15, v17, -0.5, v15
	v_add_f16_e32 v12, v19, v12
	v_add_f16_e32 v18, v22, v18
	v_add_f16_e32 v11, v23, v11
	v_add_f16_e32 v10, v27, v10
	v_fma_f16 v17, v14, s1, v9
	v_fma_f16 v9, v14, s0, v9
	v_fma_f16 v14, v26, s0, v0
	v_fma_f16 v0, v26, s1, v0
	v_fma_f16 v19, v13, s1, v15
	v_fma_f16 v8, v20, -0.5, v8
	v_fma_f16 v13, v13, s0, v15
	v_add_f16_e32 v15, v12, v11
	v_add_f16_e32 v20, v18, v10
	v_sub_f16_e32 v11, v12, v11
	v_sub_f16_e32 v18, v18, v10
	v_mul_f16_e32 v10, 0x3aee, v19
	v_mul_f16_e32 v12, -0.5, v0
	v_fma_f16 v16, v21, s0, v8
	v_fma_f16 v8, v21, s1, v8
	v_mul_f16_e32 v21, 0xbaee, v14
	v_mul_f16_e32 v22, -0.5, v13
	v_fma_f16 v10, v14, 0.5, v10
	v_fma_f16 v12, v13, s0, v12
	v_fma_f16 v13, v19, 0.5, v21
	v_fma_f16 v0, v0, s1, v22
	v_add_f16_e32 v14, v16, v10
	v_add_f16_e32 v19, v8, v12
	v_sub_f16_e32 v10, v16, v10
	v_sub_f16_e32 v8, v8, v12
	v_add_f16_e32 v22, v9, v0
	v_sub_f16_e32 v16, v9, v0
	ds_write_b16 v25, v15
	ds_write_b16 v25, v14 offset:32
	ds_write_b16 v25, v19 offset:64
	;; [unrolled: 1-line block ×5, first 2 shown]
	s_waitcnt lgkmcnt(0)
	s_barrier
	ds_read_u16 v0, v7
	ds_read_u16 v8, v7 offset:192
	ds_read_u16 v11, v7 offset:384
	;; [unrolled: 1-line block ×5, first 2 shown]
	v_add_f16_e32 v21, v17, v13
	v_sub_f16_e32 v13, v17, v13
	s_waitcnt lgkmcnt(0)
	s_barrier
	ds_write_b16 v25, v20
	ds_write_b16 v25, v21 offset:32
	ds_write_b16 v25, v22 offset:64
	;; [unrolled: 1-line block ×5, first 2 shown]
	s_waitcnt lgkmcnt(0)
	s_barrier
	s_and_saveexec_b64 s[4:5], vcc
	s_cbranch_execz .LBB0_19
; %bb.18:
	v_mul_u32_u24_e32 v5, 5, v5
	v_lshlrev_b32_e32 v5, 2, v5
	global_load_dwordx4 v[13:16], v5, s[12:13] offset:320
	global_load_dword v17, v5, s[12:13] offset:336
	v_mul_lo_u32 v5, s3, v3
	v_mul_lo_u32 v18, s2, v4
	v_mad_u64_u32 v[3:4], s[2:3], s2, v3, 0
	ds_read_u16 v19, v7
	ds_read_u16 v20, v7 offset:960
	ds_read_u16 v21, v7 offset:768
	;; [unrolled: 1-line block ×5, first 2 shown]
	v_mov_b32_e32 v25, s11
	v_add3_u32 v4, v4, v18, v5
	v_lshlrev_b64 v[3:4], 2, v[3:4]
	v_mov_b32_e32 v7, 0
	v_add_co_u32_e32 v3, vcc, s10, v3
	v_addc_co_u32_e32 v4, vcc, v25, v4, vcc
	s_waitcnt vmcnt(1) lgkmcnt(1)
	v_mul_f16_sdwa v5, v23, v14 dst_sel:DWORD dst_unused:UNUSED_PAD src0_sel:DWORD src1_sel:WORD_1
	v_mul_f16_sdwa v18, v21, v16 dst_sel:DWORD dst_unused:UNUSED_PAD src0_sel:DWORD src1_sel:WORD_1
	;; [unrolled: 1-line block ×6, first 2 shown]
	s_waitcnt vmcnt(0)
	v_mul_f16_sdwa v31, v10, v17 dst_sel:DWORD dst_unused:UNUSED_PAD src0_sel:DWORD src1_sel:WORD_1
	s_waitcnt lgkmcnt(0)
	v_mul_f16_sdwa v27, v24, v13 dst_sel:DWORD dst_unused:UNUSED_PAD src0_sel:DWORD src1_sel:WORD_1
	v_mul_f16_sdwa v29, v20, v17 dst_sel:DWORD dst_unused:UNUSED_PAD src0_sel:DWORD src1_sel:WORD_1
	;; [unrolled: 1-line block ×3, first 2 shown]
	v_fma_f16 v5, v11, v14, -v5
	v_fma_f16 v11, v12, v16, -v18
	v_fma_f16 v12, v14, v23, v25
	v_fma_f16 v14, v16, v21, v26
	v_fma_f16 v9, v9, v15, -v28
	v_fma_f16 v15, v15, v22, v30
	v_fma_f16 v16, v17, v20, v31
	v_fma_f16 v8, v8, v13, -v27
	v_fma_f16 v10, v10, v17, -v29
	v_fma_f16 v13, v13, v24, v32
	v_add_f16_e32 v23, v15, v16
	v_add_f16_e32 v20, v9, v10
	v_sub_f16_e32 v21, v15, v16
	v_sub_f16_e32 v22, v9, v10
	v_add_f16_e32 v15, v13, v15
	v_fma_f16 v13, v23, -0.5, v13
	v_sub_f16_e32 v17, v5, v11
	v_add_f16_e32 v18, v12, v14
	v_add_f16_e32 v24, v12, v19
	v_add_f16_e32 v25, v5, v11
	v_add_f16_e32 v5, v0, v5
	v_add_f16_e32 v9, v8, v9
	v_fma_f16 v8, v20, -0.5, v8
	v_add_f16_e32 v15, v15, v16
	v_fma_f16 v16, v22, s0, v13
	v_fma_f16 v13, v22, s1, v13
	v_sub_f16_e32 v12, v12, v14
	v_fma_f16 v18, v18, -0.5, v19
	v_add_f16_e32 v14, v14, v24
	v_fma_f16 v0, v25, -0.5, v0
	v_add_f16_e32 v5, v5, v11
	v_fma_f16 v11, v21, s1, v8
	v_fma_f16 v8, v21, s0, v8
	v_mul_f16_e32 v21, 0x3aee, v13
	v_add_f16_e32 v9, v9, v10
	v_fma_f16 v10, v17, s0, v18
	v_fma_f16 v17, v17, s1, v18
	v_sub_f16_e32 v18, v14, v15
	v_fma_f16 v19, v12, s1, v0
	v_fma_f16 v0, v12, s0, v0
	v_add_f16_e32 v14, v14, v15
	v_mul_f16_e32 v15, 0xbaee, v8
	v_fma_f16 v8, v8, 0.5, v21
	v_sub_f16_e32 v21, v0, v8
	v_add_f16_e32 v8, v0, v8
	v_lshlrev_b64 v[0:1], 2, v[1:2]
	v_sub_f16_e32 v12, v5, v9
	v_add_co_u32_e32 v2, vcc, v3, v0
	v_addc_co_u32_e32 v3, vcc, v4, v1, vcc
	v_lshlrev_b64 v[0:1], 2, v[6:7]
	v_add_f16_e32 v5, v5, v9
	v_mul_f16_e32 v9, -0.5, v16
	v_mul_f16_e32 v20, -0.5, v11
	v_fma_f16 v9, v11, s1, v9
	v_fma_f16 v11, v13, 0.5, v15
	v_add_co_u32_e32 v0, vcc, v2, v0
	v_fma_f16 v13, v16, s0, v20
	v_sub_f16_e32 v15, v10, v9
	v_add_f16_e32 v9, v10, v9
	v_add_f16_e32 v10, v17, v11
	v_addc_co_u32_e32 v1, vcc, v3, v1, vcc
	v_pack_b32_f16 v2, v5, v14
	v_sub_f16_e32 v16, v17, v11
	v_add_f16_e32 v11, v19, v13
	global_store_dword v[0:1], v2, off
	v_pack_b32_f16 v2, v8, v10
	global_store_dword v[0:1], v2, off offset:384
	v_pack_b32_f16 v2, v11, v9
	global_store_dword v[0:1], v2, off offset:768
	v_pack_b32_f16 v2, v12, v18
	v_sub_f16_e32 v20, v19, v13
	global_store_dword v[0:1], v2, off offset:1152
	v_pack_b32_f16 v2, v21, v16
	global_store_dword v[0:1], v2, off offset:1536
	v_pack_b32_f16 v2, v20, v15
	global_store_dword v[0:1], v2, off offset:1920
.LBB0_19:
	s_endpgm
	.section	.rodata,"a",@progbits
	.p2align	6, 0x0
	.amdhsa_kernel fft_rtc_fwd_len576_factors_16_6_6_wgs_96_tpt_96_halfLds_half_op_CI_CI_unitstride_sbrr_dirReg
		.amdhsa_group_segment_fixed_size 0
		.amdhsa_private_segment_fixed_size 0
		.amdhsa_kernarg_size 104
		.amdhsa_user_sgpr_count 6
		.amdhsa_user_sgpr_private_segment_buffer 1
		.amdhsa_user_sgpr_dispatch_ptr 0
		.amdhsa_user_sgpr_queue_ptr 0
		.amdhsa_user_sgpr_kernarg_segment_ptr 1
		.amdhsa_user_sgpr_dispatch_id 0
		.amdhsa_user_sgpr_flat_scratch_init 0
		.amdhsa_user_sgpr_private_segment_size 0
		.amdhsa_uses_dynamic_stack 0
		.amdhsa_system_sgpr_private_segment_wavefront_offset 0
		.amdhsa_system_sgpr_workgroup_id_x 1
		.amdhsa_system_sgpr_workgroup_id_y 0
		.amdhsa_system_sgpr_workgroup_id_z 0
		.amdhsa_system_sgpr_workgroup_info 0
		.amdhsa_system_vgpr_workitem_id 0
		.amdhsa_next_free_vgpr 46
		.amdhsa_next_free_sgpr 28
		.amdhsa_reserve_vcc 1
		.amdhsa_reserve_flat_scratch 0
		.amdhsa_float_round_mode_32 0
		.amdhsa_float_round_mode_16_64 0
		.amdhsa_float_denorm_mode_32 3
		.amdhsa_float_denorm_mode_16_64 3
		.amdhsa_dx10_clamp 1
		.amdhsa_ieee_mode 1
		.amdhsa_fp16_overflow 0
		.amdhsa_exception_fp_ieee_invalid_op 0
		.amdhsa_exception_fp_denorm_src 0
		.amdhsa_exception_fp_ieee_div_zero 0
		.amdhsa_exception_fp_ieee_overflow 0
		.amdhsa_exception_fp_ieee_underflow 0
		.amdhsa_exception_fp_ieee_inexact 0
		.amdhsa_exception_int_div_zero 0
	.end_amdhsa_kernel
	.text
.Lfunc_end0:
	.size	fft_rtc_fwd_len576_factors_16_6_6_wgs_96_tpt_96_halfLds_half_op_CI_CI_unitstride_sbrr_dirReg, .Lfunc_end0-fft_rtc_fwd_len576_factors_16_6_6_wgs_96_tpt_96_halfLds_half_op_CI_CI_unitstride_sbrr_dirReg
                                        ; -- End function
	.section	.AMDGPU.csdata,"",@progbits
; Kernel info:
; codeLenInByte = 4508
; NumSgprs: 32
; NumVgprs: 46
; ScratchSize: 0
; MemoryBound: 0
; FloatMode: 240
; IeeeMode: 1
; LDSByteSize: 0 bytes/workgroup (compile time only)
; SGPRBlocks: 3
; VGPRBlocks: 11
; NumSGPRsForWavesPerEU: 32
; NumVGPRsForWavesPerEU: 46
; Occupancy: 5
; WaveLimiterHint : 1
; COMPUTE_PGM_RSRC2:SCRATCH_EN: 0
; COMPUTE_PGM_RSRC2:USER_SGPR: 6
; COMPUTE_PGM_RSRC2:TRAP_HANDLER: 0
; COMPUTE_PGM_RSRC2:TGID_X_EN: 1
; COMPUTE_PGM_RSRC2:TGID_Y_EN: 0
; COMPUTE_PGM_RSRC2:TGID_Z_EN: 0
; COMPUTE_PGM_RSRC2:TIDIG_COMP_CNT: 0
	.type	__hip_cuid_853c039721173f14,@object ; @__hip_cuid_853c039721173f14
	.section	.bss,"aw",@nobits
	.globl	__hip_cuid_853c039721173f14
__hip_cuid_853c039721173f14:
	.byte	0                               ; 0x0
	.size	__hip_cuid_853c039721173f14, 1

	.ident	"AMD clang version 19.0.0git (https://github.com/RadeonOpenCompute/llvm-project roc-6.4.0 25133 c7fe45cf4b819c5991fe208aaa96edf142730f1d)"
	.section	".note.GNU-stack","",@progbits
	.addrsig
	.addrsig_sym __hip_cuid_853c039721173f14
	.amdgpu_metadata
---
amdhsa.kernels:
  - .args:
      - .actual_access:  read_only
        .address_space:  global
        .offset:         0
        .size:           8
        .value_kind:     global_buffer
      - .offset:         8
        .size:           8
        .value_kind:     by_value
      - .actual_access:  read_only
        .address_space:  global
        .offset:         16
        .size:           8
        .value_kind:     global_buffer
      - .actual_access:  read_only
        .address_space:  global
        .offset:         24
        .size:           8
        .value_kind:     global_buffer
      - .actual_access:  read_only
        .address_space:  global
        .offset:         32
        .size:           8
        .value_kind:     global_buffer
      - .offset:         40
        .size:           8
        .value_kind:     by_value
      - .actual_access:  read_only
        .address_space:  global
        .offset:         48
        .size:           8
        .value_kind:     global_buffer
      - .actual_access:  read_only
        .address_space:  global
        .offset:         56
        .size:           8
        .value_kind:     global_buffer
      - .offset:         64
        .size:           4
        .value_kind:     by_value
      - .actual_access:  read_only
        .address_space:  global
        .offset:         72
        .size:           8
        .value_kind:     global_buffer
      - .actual_access:  read_only
        .address_space:  global
        .offset:         80
        .size:           8
        .value_kind:     global_buffer
      - .actual_access:  read_only
        .address_space:  global
        .offset:         88
        .size:           8
        .value_kind:     global_buffer
      - .actual_access:  write_only
        .address_space:  global
        .offset:         96
        .size:           8
        .value_kind:     global_buffer
    .group_segment_fixed_size: 0
    .kernarg_segment_align: 8
    .kernarg_segment_size: 104
    .language:       OpenCL C
    .language_version:
      - 2
      - 0
    .max_flat_workgroup_size: 96
    .name:           fft_rtc_fwd_len576_factors_16_6_6_wgs_96_tpt_96_halfLds_half_op_CI_CI_unitstride_sbrr_dirReg
    .private_segment_fixed_size: 0
    .sgpr_count:     32
    .sgpr_spill_count: 0
    .symbol:         fft_rtc_fwd_len576_factors_16_6_6_wgs_96_tpt_96_halfLds_half_op_CI_CI_unitstride_sbrr_dirReg.kd
    .uniform_work_group_size: 1
    .uses_dynamic_stack: false
    .vgpr_count:     46
    .vgpr_spill_count: 0
    .wavefront_size: 64
amdhsa.target:   amdgcn-amd-amdhsa--gfx906
amdhsa.version:
  - 1
  - 2
...

	.end_amdgpu_metadata
